;; amdgpu-corpus repo=ROCm/hip-tests kind=compiled arch=gfx90a opt=O3
	.text
	.amdgcn_target "amdgcn-amd-amdhsa--gfx90a"
	.amdhsa_code_object_version 6
	.protected	_Z9floatMathPfS_        ; -- Begin function _Z9floatMathPfS_
	.globl	_Z9floatMathPfS_
	.p2align	8
	.type	_Z9floatMathPfS_,@function
_Z9floatMathPfS_:                       ; @_Z9floatMathPfS_
; %bb.0:
	s_load_dword s7, s[4:5], 0x1c
	s_load_dwordx4 s[0:3], s[4:5], 0x0
	v_mov_b32_e32 v5, 0x4f800000
	v_mov_b32_e32 v6, 0x411a209b
	s_mov_b32 s5, 0x3f317217
	s_waitcnt lgkmcnt(0)
	s_and_b32 s4, s7, 0xffff
	s_mul_i32 s6, s6, s4
	v_add_u32_e32 v0, s6, v0
	v_ashrrev_i32_e32 v1, 31, v0
	v_lshlrev_b64 v[0:1], 2, v[0:1]
	v_mov_b32_e32 v3, s1
	v_add_co_u32_e32 v2, vcc, s0, v0
	v_addc_co_u32_e32 v3, vcc, v3, v1, vcc
	global_load_dword v4, v[2:3], off
	s_mov_b32 s4, 0x800000
	s_mov_b32 s7, 0x3e9a209a
	;; [unrolled: 1-line block ×3, first 2 shown]
	v_mov_b32_e32 v7, 0x41b17218
	s_mov_b32 s6, 0x3f2aaaab
	s_mov_b32 s9, 0x3f317218
	v_mov_b32_e32 v14, 0x3e91f4c4
	v_mov_b32_e32 v15, 0x3ecccdef
	s_movk_i32 s8, 0x204
	v_mov_b32_e32 v18, 0x37000000
	s_mov_b32 s0, 0x3fb8aa3b
	s_mov_b32 s10, 0xc2ce8ed0
	v_mov_b32_e32 v19, 0x7f800000
	v_mov_b32_e32 v20, 0x7fc00000
	s_waitcnt vmcnt(0)
	v_mul_f32_e32 v4, 0.15915494, v4
	v_cos_f32_e32 v4, v4
	v_mul_f32_e32 v4, 0x40549a78, v4
	v_exp_f32_e32 v4, v4
	v_mul_f32_e32 v4, 0x3fb8aa3b, v4
	v_exp_f32_e32 v4, v4
	v_rsq_f32_e32 v4, v4
	v_cmp_gt_f32_e32 vcc, s4, v4
	v_cndmask_b32_e64 v8, 0, 1, vcc
	v_lshlrev_b32_e32 v8, 5, v8
	v_ldexp_f32 v4, v4, v8
	v_sqrt_f32_e32 v4, v4
	v_cndmask_b32_e64 v8, 0, -16, vcc
	v_ldexp_f32 v4, v4, v8
	v_cmp_gt_f32_e32 vcc, s4, v4
	v_cndmask_b32_e32 v8, 1.0, v5, vcc
	v_mul_f32_e32 v4, v4, v8
	v_log_f32_e32 v4, v4
	v_cndmask_b32_e32 v6, 0, v6, vcc
	v_mul_f32_e32 v8, 0x3e9a209a, v4
	v_fma_f32 v8, v4, s7, -v8
	v_fmac_f32_e32 v8, 0x3284fbcf, v4
	v_fmac_f32_e32 v8, 0x3e9a209a, v4
	v_cmp_lt_f32_e64 vcc, |v4|, s1
	v_cndmask_b32_e32 v4, v4, v8, vcc
	v_sub_f32_e32 v4, v4, v6
	v_log_f32_e32 v4, v4
	s_mov_b32 s7, 0x42b17218
	v_cmp_gt_f32_e32 vcc, s4, v4
	v_cndmask_b32_e32 v5, 1.0, v5, vcc
	v_mul_f32_e32 v4, v4, v5
	v_log_f32_e32 v4, v4
	v_cndmask_b32_e32 v5, 0, v7, vcc
	v_mul_f32_e32 v6, 0x3f317217, v4
	v_fma_f32 v6, v4, s5, -v6
	v_fmac_f32_e32 v6, 0x3377d1cf, v4
	v_fmac_f32_e32 v6, 0x3f317217, v4
	v_cmp_lt_f32_e64 vcc, |v4|, s1
	v_cndmask_b32_e32 v4, v4, v6, vcc
	v_sub_f32_e32 v21, v4, v5
	v_cmp_eq_f32_e32 vcc, 0, v21
	v_cndmask_b32_e64 v4, 2.0, 1.0, vcc
	v_cmp_eq_f32_e64 s[4:5], |v21|, v21
	v_cndmask_b32_e64 v6, 0, |v21|, s[4:5]
	v_frexp_mant_f32_e32 v7, v4
	v_cndmask_b32_e64 v22, v6, 1.0, vcc
	v_cmp_gt_f32_e32 vcc, s6, v7
	v_cndmask_b32_e64 v6, 1.0, 2.0, vcc
	v_mul_f32_e32 v6, v7, v6
	v_cvt_f64_f32_e32 v[4:5], v4
	v_add_f32_e32 v7, 1.0, v6
	v_frexp_exp_i32_f64_e32 v4, v[4:5]
	v_rcp_f32_e32 v9, v7
	v_subbrev_co_u32_e32 v4, vcc, 0, v4, vcc
	v_cvt_f32_i32_e32 v4, v4
	v_add_f32_e32 v5, -1.0, v6
	v_mul_f32_e32 v16, v5, v9
	v_add_f32_e32 v8, -1.0, v7
	v_mul_f32_e32 v10, v7, v16
	v_sub_f32_e32 v11, v6, v8
	v_mul_f32_e32 v6, 0x3f317218, v4
	v_fma_f32 v12, v16, v7, -v10
	v_fma_f32 v8, v4, s9, -v6
	v_fmac_f32_e32 v12, v16, v11
	v_fmac_f32_e32 v8, 0xb102e308, v4
	v_add_f32_e32 v4, v10, v12
	v_sub_f32_e32 v11, v5, v4
	v_mov_b32_e32 v13, v4
	v_pk_add_f32 v[4:5], v[4:5], v[10:11] neg_lo:[0,1] neg_hi:[0,1]
	v_pk_add_f32 v[4:5], v[4:5], v[12:13] neg_lo:[0,1] neg_hi:[0,1]
	v_add_f32_e32 v4, v4, v5
	v_add_f32_e32 v4, v11, v4
	v_mul_f32_e32 v5, v9, v4
	v_add_f32_e32 v4, v16, v5
	v_sub_f32_e32 v7, v4, v16
	v_mul_f32_e32 v11, v4, v4
	v_sub_f32_e32 v7, v5, v7
	v_fma_f32 v5, v4, v4, -v11
	v_add_f32_e32 v10, v7, v7
	v_fmac_f32_e32 v5, v4, v10
	v_add_f32_e32 v10, v11, v5
	v_fmac_f32_e32 v14, 0x3e76c4e1, v10
	v_sub_f32_e32 v11, v10, v11
	v_fmac_f32_e32 v15, v10, v14
	v_sub_f32_e32 v24, v5, v11
	v_mul_f32_e32 v5, v10, v15
	v_fma_f32 v11, v10, v15, -v5
	v_fmac_f32_e32 v11, v24, v15
	v_add_f32_e32 v12, v5, v11
	v_add_f32_e32 v13, 0x3f2aaaaa, v12
	v_sub_f32_e32 v5, v12, v5
	v_sub_f32_e32 v5, v11, v5
	v_add_f32_e32 v11, 0xbf2aaaaa, v13
	v_add_f32_e32 v5, 0x31739010, v5
	v_sub_f32_e32 v11, v12, v11
	v_pk_mul_f32 v[14:15], v[4:5], v[10:11]
	v_fma_f32 v12, v10, v4, -v14
	v_pk_add_f32 v[16:17], v[4:5], v[10:11]
	v_fmac_f32_e32 v12, v10, v7
	v_mov_b32_e32 v15, v17
	v_fmac_f32_e32 v12, v24, v4
	v_ldexp_f32 v9, v4, 1
	v_pk_add_f32 v[4:5], v[14:15], v[12:13]
	v_sub_f32_e32 v11, v13, v5
	v_mov_b32_e32 v10, v5
	v_ldexp_f32 v23, v7, 1
	v_sub_f32_e32 v7, v4, v14
	v_add_f32_e32 v13, v17, v11
	v_pk_mul_f32 v[10:11], v[4:5], v[10:11]
	v_sub_f32_e32 v7, v12, v7
	v_fma_f32 v12, v4, v5, -v10
	v_fmac_f32_e32 v12, v4, v13
	v_fmac_f32_e32 v12, v7, v5
	v_add_f32_e32 v7, v10, v12
	v_pk_add_f32 v[4:5], v[6:7], v[8:9]
	v_mov_b32_e32 v11, v9
	v_mov_b32_e32 v14, v7
	;; [unrolled: 1-line block ×4, first 2 shown]
	v_pk_add_f32 v[10:11], v[14:15], v[10:11] neg_lo:[0,1] neg_hi:[0,1]
	v_pk_add_f32 v[10:11], v[12:13], v[10:11] neg_lo:[0,1] neg_hi:[0,1]
	v_add_f32_e32 v7, v23, v10
	v_add_f32_e32 v7, v7, v11
	v_pk_add_f32 v[10:11], v[4:5], v[6:7] neg_lo:[0,1] neg_hi:[0,1]
	v_pk_add_f32 v[12:13], v[4:5], v[6:7]
	v_mov_b32_e32 v9, v4
	v_mov_b32_e32 v14, v10
	;; [unrolled: 1-line block ×3, first 2 shown]
	v_pk_add_f32 v[14:15], v[8:9], v[14:15]
	v_mov_b32_e32 v6, v15
	v_mov_b32_e32 v16, v5
	v_pk_add_f32 v[4:5], v[6:7], v[4:5] neg_lo:[0,1] neg_hi:[0,1]
	v_mov_b32_e32 v14, v13
	v_mov_b32_e32 v5, v4
	;; [unrolled: 1-line block ×3, first 2 shown]
	v_pk_add_f32 v[10:11], v[8:9], v[10:11] neg_lo:[0,1] neg_hi:[0,1]
	v_mov_b32_e32 v8, v7
	v_pk_add_f32 v[4:5], v[12:13], v[4:5] neg_lo:[0,1] neg_hi:[0,1]
	v_pk_add_f32 v[12:13], v[14:15], v[16:17] neg_lo:[0,1] neg_hi:[0,1]
	;; [unrolled: 1-line block ×3, first 2 shown]
	v_mov_b32_e32 v4, v10
	v_pk_add_f32 v[4:5], v[4:5], v[8:9]
	v_mov_b32_e32 v12, v5
	v_pk_add_f32 v[12:13], v[4:5], v[12:13]
	v_pk_add_f32 v[6:7], v[6:7], v[12:13]
	v_mov_b32_e32 v11, v15
	v_mov_b32_e32 v5, v6
	;; [unrolled: 1-line block ×3, first 2 shown]
	v_pk_add_f32 v[12:13], v[4:5], v[10:11] neg_lo:[0,1] neg_hi:[0,1]
	v_sub_f32_e32 v4, v4, v12
	v_pk_add_f32 v[8:9], v[8:9], v[12:13] neg_lo:[0,1] neg_hi:[0,1]
	v_sub_f32_e32 v4, v10, v4
	v_add_f32_e32 v4, v8, v4
	v_add_f32_e32 v4, v4, v9
	;; [unrolled: 1-line block ×3, first 2 shown]
	v_sub_f32_e32 v6, v5, v6
	v_mul_f32_e32 v7, v21, v5
	v_sub_f32_e32 v4, v4, v6
	v_fma_f32 v5, v21, v5, -v7
	v_fmac_f32_e32 v5, v21, v4
	v_add_f32_e32 v4, v7, v5
	v_cmp_class_f32_e64 vcc, v7, s8
	v_sub_f32_e32 v6, v4, v7
	v_cndmask_b32_e32 v4, v4, v7, vcc
	v_cmp_eq_f32_e32 vcc, s7, v4
	v_sub_f32_e32 v5, v5, v6
	v_cndmask_b32_e32 v6, 0, v18, vcc
	v_sub_f32_e32 v7, v4, v6
	v_mul_f32_e32 v8, 0x3fb8aa3b, v7
	v_fma_f32 v9, v7, s0, -v8
	v_rndne_f32_e32 v10, v8
	v_fmac_f32_e32 v9, 0x32a5705f, v7
	v_sub_f32_e32 v8, v8, v10
	v_add_f32_e32 v8, v8, v9
	v_cvt_i32_f32_e32 v10, v10
	v_exp_f32_e32 v8, v8
	v_cmp_neq_f32_e64 vcc, |v4|, s1
	v_cndmask_b32_e32 v4, 0, v5, vcc
	v_cmp_ngt_f32_e32 vcc, s10, v7
	v_ldexp_f32 v5, v8, v10
	v_cndmask_b32_e32 v5, 0, v5, vcc
	v_cmp_nlt_f32_e32 vcc, s7, v7
	v_add_f32_e32 v4, v6, v4
	v_cndmask_b32_e32 v5, v19, v5, vcc
	v_fma_f32 v4, v5, v4, v5
	v_cmp_class_f32_e64 vcc, v5, s8
	v_cndmask_b32_e32 v4, v4, v5, vcc
	v_cmp_class_f32_e64 s[0:1], v21, s8
	v_cndmask_b32_e64 v4, |v4|, v22, s[0:1]
	v_cmp_o_f32_e32 vcc, v21, v21
	v_cndmask_b32_e32 v4, v20, v4, vcc
	v_mul_f32_e32 v4, 0.15915494, v4
	v_cos_f32_e32 v5, v4
	v_sin_f32_e32 v4, v4
	v_mov_b32_e32 v7, s3
	v_add_co_u32_e32 v0, vcc, s2, v0
	v_mul_f32_e32 v5, 0.15915494, v5
	v_sin_f32_e32 v5, v5
	v_addc_co_u32_e32 v1, vcc, v7, v1, vcc
	global_store_dword v[2:3], v4, off
	v_mul_f32_e32 v5, 0.15915494, v5
	v_cos_f32_e32 v5, v5
	v_mul_f32_e32 v5, 0.15915494, v5
	v_cos_f32_e32 v6, v5
	v_sin_f32_e32 v5, v5
	v_rcp_f32_e32 v6, v6
	v_mul_f32_e32 v2, v5, v6
	global_store_dword v[0:1], v2, off
	s_endpgm
	.section	.rodata,"a",@progbits
	.p2align	6, 0x0
	.amdhsa_kernel _Z9floatMathPfS_
		.amdhsa_group_segment_fixed_size 0
		.amdhsa_private_segment_fixed_size 0
		.amdhsa_kernarg_size 272
		.amdhsa_user_sgpr_count 6
		.amdhsa_user_sgpr_private_segment_buffer 1
		.amdhsa_user_sgpr_dispatch_ptr 0
		.amdhsa_user_sgpr_queue_ptr 0
		.amdhsa_user_sgpr_kernarg_segment_ptr 1
		.amdhsa_user_sgpr_dispatch_id 0
		.amdhsa_user_sgpr_flat_scratch_init 0
		.amdhsa_user_sgpr_kernarg_preload_length 0
		.amdhsa_user_sgpr_kernarg_preload_offset 0
		.amdhsa_user_sgpr_private_segment_size 0
		.amdhsa_uses_dynamic_stack 0
		.amdhsa_system_sgpr_private_segment_wavefront_offset 0
		.amdhsa_system_sgpr_workgroup_id_x 1
		.amdhsa_system_sgpr_workgroup_id_y 0
		.amdhsa_system_sgpr_workgroup_id_z 0
		.amdhsa_system_sgpr_workgroup_info 0
		.amdhsa_system_vgpr_workitem_id 0
		.amdhsa_next_free_vgpr 25
		.amdhsa_next_free_sgpr 11
		.amdhsa_accum_offset 28
		.amdhsa_reserve_vcc 1
		.amdhsa_reserve_flat_scratch 0
		.amdhsa_float_round_mode_32 0
		.amdhsa_float_round_mode_16_64 0
		.amdhsa_float_denorm_mode_32 3
		.amdhsa_float_denorm_mode_16_64 3
		.amdhsa_dx10_clamp 1
		.amdhsa_ieee_mode 1
		.amdhsa_fp16_overflow 0
		.amdhsa_tg_split 0
		.amdhsa_exception_fp_ieee_invalid_op 0
		.amdhsa_exception_fp_denorm_src 0
		.amdhsa_exception_fp_ieee_div_zero 0
		.amdhsa_exception_fp_ieee_overflow 0
		.amdhsa_exception_fp_ieee_underflow 0
		.amdhsa_exception_fp_ieee_inexact 0
		.amdhsa_exception_int_div_zero 0
	.end_amdhsa_kernel
	.text
.Lfunc_end0:
	.size	_Z9floatMathPfS_, .Lfunc_end0-_Z9floatMathPfS_
                                        ; -- End function
	.section	.AMDGPU.csdata,"",@progbits
; Kernel info:
; codeLenInByte = 1324
; NumSgprs: 15
; NumVgprs: 25
; NumAgprs: 0
; TotalNumVgprs: 25
; ScratchSize: 0
; MemoryBound: 0
; FloatMode: 240
; IeeeMode: 1
; LDSByteSize: 0 bytes/workgroup (compile time only)
; SGPRBlocks: 1
; VGPRBlocks: 3
; NumSGPRsForWavesPerEU: 15
; NumVGPRsForWavesPerEU: 25
; AccumOffset: 28
; Occupancy: 8
; WaveLimiterHint : 0
; COMPUTE_PGM_RSRC2:SCRATCH_EN: 0
; COMPUTE_PGM_RSRC2:USER_SGPR: 6
; COMPUTE_PGM_RSRC2:TRAP_HANDLER: 0
; COMPUTE_PGM_RSRC2:TGID_X_EN: 1
; COMPUTE_PGM_RSRC2:TGID_Y_EN: 0
; COMPUTE_PGM_RSRC2:TGID_Z_EN: 0
; COMPUTE_PGM_RSRC2:TIDIG_COMP_CNT: 0
; COMPUTE_PGM_RSRC3_GFX90A:ACCUM_OFFSET: 6
; COMPUTE_PGM_RSRC3_GFX90A:TG_SPLIT: 0
	.text
	.p2alignl 6, 3212836864
	.fill 256, 4, 3212836864
	.type	__hip_cuid_9b703b8b6b41e193,@object ; @__hip_cuid_9b703b8b6b41e193
	.section	.bss,"aw",@nobits
	.globl	__hip_cuid_9b703b8b6b41e193
__hip_cuid_9b703b8b6b41e193:
	.byte	0                               ; 0x0
	.size	__hip_cuid_9b703b8b6b41e193, 1

	.ident	"AMD clang version 19.0.0git (https://github.com/RadeonOpenCompute/llvm-project roc-6.4.0 25133 c7fe45cf4b819c5991fe208aaa96edf142730f1d)"
	.section	".note.GNU-stack","",@progbits
	.addrsig
	.addrsig_sym __hip_cuid_9b703b8b6b41e193
	.amdgpu_metadata
---
amdhsa.kernels:
  - .agpr_count:     0
    .args:
      - .address_space:  global
        .offset:         0
        .size:           8
        .value_kind:     global_buffer
      - .address_space:  global
        .offset:         8
        .size:           8
        .value_kind:     global_buffer
      - .offset:         16
        .size:           4
        .value_kind:     hidden_block_count_x
      - .offset:         20
        .size:           4
        .value_kind:     hidden_block_count_y
      - .offset:         24
        .size:           4
        .value_kind:     hidden_block_count_z
      - .offset:         28
        .size:           2
        .value_kind:     hidden_group_size_x
      - .offset:         30
        .size:           2
        .value_kind:     hidden_group_size_y
      - .offset:         32
        .size:           2
        .value_kind:     hidden_group_size_z
      - .offset:         34
        .size:           2
        .value_kind:     hidden_remainder_x
      - .offset:         36
        .size:           2
        .value_kind:     hidden_remainder_y
      - .offset:         38
        .size:           2
        .value_kind:     hidden_remainder_z
      - .offset:         56
        .size:           8
        .value_kind:     hidden_global_offset_x
      - .offset:         64
        .size:           8
        .value_kind:     hidden_global_offset_y
      - .offset:         72
        .size:           8
        .value_kind:     hidden_global_offset_z
      - .offset:         80
        .size:           2
        .value_kind:     hidden_grid_dims
    .group_segment_fixed_size: 0
    .kernarg_segment_align: 8
    .kernarg_segment_size: 272
    .language:       OpenCL C
    .language_version:
      - 2
      - 0
    .max_flat_workgroup_size: 1024
    .name:           _Z9floatMathPfS_
    .private_segment_fixed_size: 0
    .sgpr_count:     15
    .sgpr_spill_count: 0
    .symbol:         _Z9floatMathPfS_.kd
    .uniform_work_group_size: 1
    .uses_dynamic_stack: false
    .vgpr_count:     25
    .vgpr_spill_count: 0
    .wavefront_size: 64
amdhsa.target:   amdgcn-amd-amdhsa--gfx90a
amdhsa.version:
  - 1
  - 2
...

	.end_amdgpu_metadata
